;; amdgpu-corpus repo=ROCm/rocFFT kind=compiled arch=gfx1201 opt=O3
	.text
	.amdgcn_target "amdgcn-amd-amdhsa--gfx1201"
	.amdhsa_code_object_version 6
	.protected	fft_rtc_back_len224_factors_7_2_4_4_wgs_252_tpt_28_dim3_dp_op_CI_CI_sbcc_twdbase8_3step_dirReg ; -- Begin function fft_rtc_back_len224_factors_7_2_4_4_wgs_252_tpt_28_dim3_dp_op_CI_CI_sbcc_twdbase8_3step_dirReg
	.globl	fft_rtc_back_len224_factors_7_2_4_4_wgs_252_tpt_28_dim3_dp_op_CI_CI_sbcc_twdbase8_3step_dirReg
	.p2align	8
	.type	fft_rtc_back_len224_factors_7_2_4_4_wgs_252_tpt_28_dim3_dp_op_CI_CI_sbcc_twdbase8_3step_dirReg,@function
fft_rtc_back_len224_factors_7_2_4_4_wgs_252_tpt_28_dim3_dp_op_CI_CI_sbcc_twdbase8_3step_dirReg: ; @fft_rtc_back_len224_factors_7_2_4_4_wgs_252_tpt_28_dim3_dp_op_CI_CI_sbcc_twdbase8_3step_dirReg
; %bb.0:
	s_load_b128 s[4:7], s[0:1], 0x10
	s_mov_b32 s3, 0
	s_mov_b32 s8, 0x71c4fc00
	s_movk_i32 s9, 0x7c
	s_mov_b32 s2, s3
	s_mov_b64 s[24:25], 0
	s_add_nc_u64 s[8:9], s[2:3], s[8:9]
	s_delay_alu instid0(SALU_CYCLE_1) | instskip(NEXT) | instid1(SALU_CYCLE_1)
	s_add_co_i32 s9, s9, 0x1c71c6a0
	s_mul_u64 s[10:11], s[8:9], -9
	s_delay_alu instid0(SALU_CYCLE_1)
	s_mul_hi_u32 s13, s8, s11
	s_mul_i32 s12, s8, s11
	s_mul_hi_u32 s2, s8, s10
	s_mul_i32 s15, s9, s10
	s_add_nc_u64 s[12:13], s[2:3], s[12:13]
	s_mul_hi_u32 s14, s9, s10
	s_mul_hi_u32 s16, s9, s11
	s_add_co_u32 s2, s12, s15
	s_wait_kmcnt 0x0
	s_load_b64 s[22:23], s[4:5], 0x8
	s_add_co_ci_u32 s2, s13, s14
	s_mul_i32 s10, s9, s11
	s_add_co_ci_u32 s11, s16, 0
	s_delay_alu instid0(SALU_CYCLE_1) | instskip(NEXT) | instid1(SALU_CYCLE_1)
	s_add_nc_u64 s[10:11], s[2:3], s[10:11]
	v_add_co_u32 v1, s2, s8, s10
	s_delay_alu instid0(VALU_DEP_1) | instskip(SKIP_1) | instid1(VALU_DEP_1)
	s_cmp_lg_u32 s2, 0
	s_add_co_ci_u32 s12, s9, s11
	v_readfirstlane_b32 s13, v1
	s_wait_kmcnt 0x0
	s_add_nc_u64 s[8:9], s[22:23], -1
	s_wait_alu 0xfffe
	s_mul_hi_u32 s11, s8, s12
	s_mul_i32 s10, s8, s12
	s_mul_hi_u32 s2, s8, s13
	s_mul_hi_u32 s15, s9, s13
	s_mul_i32 s13, s9, s13
	s_wait_alu 0xfffe
	s_add_nc_u64 s[10:11], s[2:3], s[10:11]
	s_mul_hi_u32 s14, s9, s12
	s_wait_alu 0xfffe
	s_add_co_u32 s2, s10, s13
	s_add_co_ci_u32 s2, s11, s15
	s_mul_i32 s12, s9, s12
	s_add_co_ci_u32 s13, s14, 0
	s_delay_alu instid0(SALU_CYCLE_1) | instskip(SKIP_2) | instid1(SALU_CYCLE_1)
	s_add_nc_u64 s[10:11], s[2:3], s[12:13]
	s_wait_alu 0xfffe
	s_mul_u64 s[12:13], s[10:11], 9
	v_sub_co_u32 v1, s2, s8, s12
	s_delay_alu instid0(VALU_DEP_1) | instskip(SKIP_1) | instid1(VALU_DEP_1)
	s_cmp_lg_u32 s2, 0
	s_sub_co_ci_u32 s14, s9, s13
	v_sub_co_u32 v2, s8, v1, 9
	s_delay_alu instid0(VALU_DEP_1) | instskip(SKIP_2) | instid1(VALU_DEP_2)
	s_cmp_lg_u32 s8, 0
	v_readfirstlane_b32 s15, v1
	s_sub_co_ci_u32 s12, s14, 0
	v_readfirstlane_b32 s2, v2
	s_add_nc_u64 s[8:9], s[10:11], 1
	s_delay_alu instid0(VALU_DEP_1)
	s_cmp_gt_u32 s2, 8
	s_cselect_b32 s2, -1, 0
	s_wait_alu 0xfffe
	s_cmp_eq_u32 s12, 0
	s_add_nc_u64 s[12:13], s[10:11], 2
	s_cselect_b32 s2, s2, -1
	s_delay_alu instid0(SALU_CYCLE_1)
	s_cmp_lg_u32 s2, 0
	s_wait_alu 0xfffe
	s_cselect_b32 s2, s12, s8
	s_cselect_b32 s8, s13, s9
	s_cmp_gt_u32 s15, 8
	s_cselect_b32 s9, -1, 0
	s_cmp_eq_u32 s14, 0
	s_wait_alu 0xfffe
	s_cselect_b32 s9, s9, -1
	s_wait_alu 0xfffe
	s_cmp_lg_u32 s9, 0
	s_cselect_b32 s9, s8, s11
	s_cselect_b32 s8, s2, s10
	s_mov_b32 s2, ttmp9
	s_wait_alu 0xfffe
	s_add_nc_u64 s[20:21], s[8:9], 1
	s_delay_alu instid0(SALU_CYCLE_1) | instskip(NEXT) | instid1(VALU_DEP_1)
	v_cmp_lt_u64_e64 s8, s[2:3], s[20:21]
	s_and_b32 vcc_lo, exec_lo, s8
	s_cbranch_vccnz .LBB0_2
; %bb.1:
	v_cvt_f32_u32_e32 v1, s20
	s_sub_co_i32 s9, 0, s20
	s_mov_b32 s25, s3
	s_delay_alu instid0(VALU_DEP_1) | instskip(NEXT) | instid1(TRANS32_DEP_1)
	v_rcp_iflag_f32_e32 v1, v1
	v_mul_f32_e32 v1, 0x4f7ffffe, v1
	s_delay_alu instid0(VALU_DEP_1) | instskip(NEXT) | instid1(VALU_DEP_1)
	v_cvt_u32_f32_e32 v1, v1
	v_readfirstlane_b32 s8, v1
	s_wait_alu 0xfffe
	s_delay_alu instid0(VALU_DEP_1)
	s_mul_i32 s9, s9, s8
	s_wait_alu 0xfffe
	s_mul_hi_u32 s9, s8, s9
	s_wait_alu 0xfffe
	s_add_co_i32 s8, s8, s9
	s_wait_alu 0xfffe
	s_mul_hi_u32 s8, s2, s8
	s_wait_alu 0xfffe
	s_mul_i32 s9, s8, s20
	s_add_co_i32 s10, s8, 1
	s_wait_alu 0xfffe
	s_sub_co_i32 s9, s2, s9
	s_wait_alu 0xfffe
	s_sub_co_i32 s11, s9, s20
	s_cmp_ge_u32 s9, s20
	s_cselect_b32 s8, s10, s8
	s_wait_alu 0xfffe
	s_cselect_b32 s9, s11, s9
	s_add_co_i32 s10, s8, 1
	s_wait_alu 0xfffe
	s_cmp_ge_u32 s9, s20
	s_cselect_b32 s24, s10, s8
.LBB0_2:
	s_load_b64 s[8:9], s[4:5], 0x10
	s_load_b64 s[4:5], s[0:1], 0x20
	s_mov_b64 s[16:17], s[24:25]
	s_wait_kmcnt 0x0
	v_cmp_lt_u64_e64 s10, s[24:25], s[8:9]
	s_delay_alu instid0(VALU_DEP_1)
	s_and_b32 vcc_lo, exec_lo, s10
	s_cbranch_vccnz .LBB0_4
; %bb.3:
	v_cvt_f32_u32_e32 v1, s8
	s_sub_co_i32 s11, 0, s8
	s_mov_b32 s17, 0
	s_delay_alu instid0(VALU_DEP_1) | instskip(NEXT) | instid1(TRANS32_DEP_1)
	v_rcp_iflag_f32_e32 v1, v1
	v_mul_f32_e32 v1, 0x4f7ffffe, v1
	s_delay_alu instid0(VALU_DEP_1) | instskip(NEXT) | instid1(VALU_DEP_1)
	v_cvt_u32_f32_e32 v1, v1
	v_readfirstlane_b32 s10, v1
	s_wait_alu 0xfffe
	s_delay_alu instid0(VALU_DEP_1)
	s_mul_i32 s11, s11, s10
	s_wait_alu 0xfffe
	s_mul_hi_u32 s11, s10, s11
	s_wait_alu 0xfffe
	s_add_co_i32 s10, s10, s11
	s_wait_alu 0xfffe
	s_mul_hi_u32 s10, s24, s10
	s_wait_alu 0xfffe
	s_mul_i32 s10, s10, s8
	s_wait_alu 0xfffe
	s_sub_co_i32 s10, s24, s10
	s_wait_alu 0xfffe
	s_sub_co_i32 s11, s10, s8
	s_cmp_ge_u32 s10, s8
	s_wait_alu 0xfffe
	s_cselect_b32 s10, s11, s10
	s_wait_alu 0xfffe
	s_sub_co_i32 s11, s10, s8
	s_cmp_ge_u32 s10, s8
	s_wait_alu 0xfffe
	s_cselect_b32 s16, s11, s10
.LBB0_4:
	s_clause 0x1
	s_load_b128 s[12:15], s[6:7], 0x0
	s_load_b64 s[26:27], s[6:7], 0x10
	s_mul_u64 s[8:9], s[8:9], s[20:21]
	s_mov_b64 s[18:19], 0
	s_wait_alu 0xfffe
	v_cmp_lt_u64_e64 s9, s[2:3], s[8:9]
	s_delay_alu instid0(VALU_DEP_1)
	s_and_b32 vcc_lo, exec_lo, s9
	s_cbranch_vccnz .LBB0_6
; %bb.5:
	v_cvt_f32_u32_e32 v1, s8
	s_sub_co_i32 s10, 0, s8
	s_mov_b32 s19, 0
	s_delay_alu instid0(VALU_DEP_1) | instskip(NEXT) | instid1(TRANS32_DEP_1)
	v_rcp_iflag_f32_e32 v1, v1
	v_mul_f32_e32 v1, 0x4f7ffffe, v1
	s_delay_alu instid0(VALU_DEP_1) | instskip(NEXT) | instid1(VALU_DEP_1)
	v_cvt_u32_f32_e32 v1, v1
	v_readfirstlane_b32 s9, v1
	s_wait_alu 0xfffe
	s_delay_alu instid0(VALU_DEP_1)
	s_mul_i32 s10, s10, s9
	s_wait_alu 0xfffe
	s_mul_hi_u32 s10, s9, s10
	s_wait_alu 0xfffe
	s_add_co_i32 s9, s9, s10
	s_wait_alu 0xfffe
	s_mul_hi_u32 s9, s2, s9
	s_wait_alu 0xfffe
	s_mul_i32 s10, s9, s8
	s_add_co_i32 s11, s9, 1
	s_wait_alu 0xfffe
	s_sub_co_i32 s10, s2, s10
	s_wait_alu 0xfffe
	s_sub_co_i32 s18, s10, s8
	s_cmp_ge_u32 s10, s8
	s_cselect_b32 s9, s11, s9
	s_cselect_b32 s10, s18, s10
	s_wait_alu 0xfffe
	s_add_co_i32 s11, s9, 1
	s_cmp_ge_u32 s10, s8
	s_wait_alu 0xfffe
	s_cselect_b32 s18, s11, s9
.LBB0_6:
	v_mul_u32_u24_e32 v1, 0x1c72, v0
	s_load_b64 s[28:29], s[6:7], 0x18
	s_mul_u64 s[20:21], s[24:25], s[20:21]
	s_load_b256 s[4:11], s[4:5], 0x0
	s_load_b64 s[24:25], s[0:1], 0x58
	v_lshrrev_b32_e32 v60, 16, v1
	s_sub_nc_u64 s[2:3], s[2:3], s[20:21]
	s_wait_kmcnt 0x0
	s_mul_u64 s[26:27], s[26:27], s[16:17]
	s_wait_alu 0xfffe
	s_mul_u64 s[20:21], s[2:3], 9
	s_wait_alu 0xfffe
	s_mul_u64 s[2:3], s[14:15], s[20:21]
	v_mul_lo_u16 v1, v60, 9
	s_wait_alu 0xfffe
	s_add_nc_u64 s[2:3], s[26:27], s[2:3]
	s_add_nc_u64 s[30:31], s[20:21], 9
	s_delay_alu instid0(SALU_CYCLE_1) | instskip(SKIP_2) | instid1(VALU_DEP_3)
	v_cmp_gt_u64_e64 s34, s[30:31], s[22:23]
	v_sub_nc_u16 v1, v0, v1
	v_cmp_le_u64_e64 s33, s[30:31], s[22:23]
	s_and_b32 vcc_lo, exec_lo, s34
	s_delay_alu instid0(VALU_DEP_2) | instskip(NEXT) | instid1(VALU_DEP_1)
	v_and_b32_e32 v59, 0xffff, v1
	v_add_co_u32 v57, s26, s20, v59
	s_delay_alu instid0(VALU_DEP_1)
	v_add_co_ci_u32_e64 v58, null, s21, 0, s26
	s_mul_u64 s[26:27], s[28:29], s[18:19]
	s_mov_b32 s28, 0
	s_wait_alu 0xfffe
	s_add_nc_u64 s[26:27], s[26:27], s[2:3]
	v_cmp_gt_u64_e64 s2, s[22:23], v[57:58]
	s_cbranch_vccz .LBB0_10
; %bb.7:
	s_mov_b32 s3, 0
                                        ; implicit-def: $vgpr37_vgpr38
                                        ; implicit-def: $vgpr1_vgpr2
                                        ; implicit-def: $vgpr9_vgpr10
                                        ; implicit-def: $vgpr13_vgpr14
                                        ; implicit-def: $vgpr17_vgpr18
                                        ; implicit-def: $vgpr25_vgpr26
                                        ; implicit-def: $vgpr21_vgpr22
                                        ; implicit-def: $vgpr5_vgpr6
	s_delay_alu instid0(VALU_DEP_1) | instskip(NEXT) | instid1(SALU_CYCLE_1)
	s_and_saveexec_b32 s29, s2
	s_xor_b32 s2, exec_lo, s29
	s_cbranch_execz .LBB0_9
; %bb.8:
	v_mad_co_u64_u32 v[1:2], null, s14, v59, 0
	v_mad_co_u64_u32 v[3:4], null, s12, v60, 0
	v_or_b32_e32 v11, 32, v60
	v_or_b32_e32 v12, 64, v60
	s_wait_alu 0xfffe
	s_lshl_b64 s[28:29], s[26:27], 4
	v_or_b32_e32 v17, 0x60, v60
	s_add_nc_u64 s[28:29], s[24:25], s[28:29]
	v_mad_co_u64_u32 v[5:6], null, s12, v11, 0
	v_mad_co_u64_u32 v[7:8], null, s15, v59, v[2:3]
	v_or_b32_e32 v21, 0xa0, v60
	v_or_b32_e32 v22, 0xc0, v60
	s_delay_alu instid0(VALU_DEP_4) | instskip(SKIP_4) | instid1(VALU_DEP_3)
	v_mad_co_u64_u32 v[8:9], null, s13, v60, v[4:5]
	v_mad_co_u64_u32 v[9:10], null, s12, v12, 0
	v_mov_b32_e32 v4, v6
	v_mov_b32_e32 v2, v7
	v_mad_co_u64_u32 v[15:16], null, s12, v21, 0
	v_mad_co_u64_u32 v[6:7], null, s13, v11, v[4:5]
	v_mov_b32_e32 v4, v8
	s_delay_alu instid0(VALU_DEP_4) | instskip(SKIP_2) | instid1(VALU_DEP_4)
	v_lshlrev_b64_e32 v[1:2], 4, v[1:2]
	v_or_b32_e32 v8, 0x80, v60
	v_mov_b32_e32 v7, v10
	v_lshlrev_b64_e32 v[3:4], 4, v[3:4]
	s_delay_alu instid0(VALU_DEP_4)
	v_add_co_u32 v37, vcc_lo, s28, v1
	v_add_co_ci_u32_e32 v38, vcc_lo, s29, v2, vcc_lo
	v_lshlrev_b64_e32 v[1:2], 4, v[5:6]
	v_mad_co_u64_u32 v[5:6], null, s13, v12, v[7:8]
	v_mad_co_u64_u32 v[11:12], null, s12, v17, 0
	;; [unrolled: 1-line block ×3, first 2 shown]
	v_add_co_u32 v3, vcc_lo, v37, v3
	s_wait_alu 0xfffd
	v_add_co_ci_u32_e32 v4, vcc_lo, v38, v4, vcc_lo
	v_add_co_u32 v6, vcc_lo, v37, v1
	s_wait_alu 0xfffd
	v_add_co_ci_u32_e32 v7, vcc_lo, v38, v2, vcc_lo
	v_dual_mov_b32 v1, v12 :: v_dual_mov_b32 v2, v14
	v_mov_b32_e32 v10, v5
	s_delay_alu instid0(VALU_DEP_2) | instskip(SKIP_2) | instid1(VALU_DEP_4)
	v_mad_co_u64_u32 v[17:18], null, s13, v17, v[1:2]
	v_mad_co_u64_u32 v[18:19], null, s13, v8, v[2:3]
	;; [unrolled: 1-line block ×3, first 2 shown]
	v_lshlrev_b64_e32 v[9:10], 4, v[9:10]
	s_clause 0x1
	global_load_b128 v[1:4], v[3:4], off
	global_load_b128 v[5:8], v[6:7], off
	v_mov_b32_e32 v12, v17
	v_mad_co_u64_u32 v[16:17], null, s13, v21, v[16:17]
	v_dual_mov_b32 v14, v18 :: v_dual_mov_b32 v17, v20
	s_delay_alu instid0(VALU_DEP_3) | instskip(SKIP_1) | instid1(VALU_DEP_3)
	v_lshlrev_b64_e32 v[11:12], 4, v[11:12]
	v_add_co_u32 v9, vcc_lo, v37, v9
	v_lshlrev_b64_e32 v[13:14], 4, v[13:14]
	s_delay_alu instid0(VALU_DEP_4)
	v_mad_co_u64_u32 v[17:18], null, s13, v22, v[17:18]
	s_wait_alu 0xfffd
	v_add_co_ci_u32_e32 v10, vcc_lo, v38, v10, vcc_lo
	v_add_co_u32 v11, vcc_lo, v37, v11
	v_lshlrev_b64_e32 v[15:16], 4, v[15:16]
	s_wait_alu 0xfffd
	v_add_co_ci_u32_e32 v12, vcc_lo, v38, v12, vcc_lo
	v_mov_b32_e32 v20, v17
	v_add_co_u32 v13, vcc_lo, v37, v13
	s_wait_alu 0xfffd
	v_add_co_ci_u32_e32 v14, vcc_lo, v38, v14, vcc_lo
	s_delay_alu instid0(VALU_DEP_3) | instskip(SKIP_3) | instid1(VALU_DEP_3)
	v_lshlrev_b64_e32 v[17:18], 4, v[19:20]
	v_add_co_u32 v19, vcc_lo, v37, v15
	s_wait_alu 0xfffd
	v_add_co_ci_u32_e32 v20, vcc_lo, v38, v16, vcc_lo
	v_add_co_u32 v17, vcc_lo, v37, v17
	s_wait_alu 0xfffd
	v_add_co_ci_u32_e32 v18, vcc_lo, v38, v18, vcc_lo
	s_clause 0x4
	global_load_b128 v[21:24], v[9:10], off
	global_load_b128 v[9:12], v[11:12], off
	;; [unrolled: 1-line block ×5, first 2 shown]
	v_cmp_gt_u32_e32 vcc_lo, 36, v0
	s_and_b32 s28, vcc_lo, exec_lo
.LBB0_9:
	s_wait_alu 0xfffe
	s_or_b32 exec_lo, exec_lo, s2
	v_cmp_gt_u32_e64 s2, 36, v0
	s_and_b32 vcc_lo, exec_lo, s3
	s_wait_alu 0xfffe
	s_cbranch_vccnz .LBB0_11
	s_branch .LBB0_12
.LBB0_10:
                                        ; implicit-def: $vgpr37_vgpr38
                                        ; implicit-def: $vgpr1_vgpr2
                                        ; implicit-def: $vgpr9_vgpr10
                                        ; implicit-def: $vgpr13_vgpr14
                                        ; implicit-def: $vgpr17_vgpr18
                                        ; implicit-def: $vgpr25_vgpr26
                                        ; implicit-def: $vgpr21_vgpr22
                                        ; implicit-def: $vgpr5_vgpr6
	v_cmp_gt_u32_e64 s2, 36, v0
	s_cbranch_execz .LBB0_12
.LBB0_11:
	s_wait_loadcnt 0x6
	v_mad_co_u64_u32 v[1:2], null, s14, v59, 0
	v_mad_co_u64_u32 v[3:4], null, s12, v60, 0
	s_wait_loadcnt 0x3
	v_or_b32_e32 v11, 32, v60
	v_or_b32_e32 v12, 64, v60
	s_wait_loadcnt 0x0
	v_or_b32_e32 v17, 0x60, v60
	v_or_b32_e32 v21, 0xa0, v60
	;; [unrolled: 1-line block ×3, first 2 shown]
	v_mad_co_u64_u32 v[5:6], null, s12, v11, 0
	v_mad_co_u64_u32 v[7:8], null, s15, v59, v[2:3]
	s_wait_alu 0xfffe
	s_lshl_b64 s[14:15], s[26:27], 4
	v_mad_co_u64_u32 v[15:16], null, s12, v21, 0
	s_wait_alu 0xfffe
	s_add_nc_u64 s[14:15], s[24:25], s[14:15]
	s_delay_alu instid0(VALU_DEP_3)
	v_mad_co_u64_u32 v[8:9], null, s13, v60, v[4:5]
	v_mad_co_u64_u32 v[9:10], null, s12, v12, 0
	v_mov_b32_e32 v4, v6
	v_mov_b32_e32 v2, v7
	s_and_not1_b32 s3, s28, exec_lo
	s_and_b32 s2, s2, exec_lo
	s_delay_alu instid0(VALU_DEP_2)
	v_mad_co_u64_u32 v[6:7], null, s13, v11, v[4:5]
	v_mov_b32_e32 v4, v8
	v_lshlrev_b64_e32 v[1:2], 4, v[1:2]
	v_or_b32_e32 v8, 0x80, v60
	v_mov_b32_e32 v7, v10
	s_wait_alu 0xfffe
	s_or_b32 s28, s3, s2
	v_lshlrev_b64_e32 v[3:4], 4, v[3:4]
	v_add_co_u32 v37, vcc_lo, s14, v1
	s_wait_alu 0xfffd
	v_add_co_ci_u32_e32 v38, vcc_lo, s15, v2, vcc_lo
	v_lshlrev_b64_e32 v[1:2], 4, v[5:6]
	v_mad_co_u64_u32 v[5:6], null, s13, v12, v[7:8]
	v_mad_co_u64_u32 v[11:12], null, s12, v17, 0
	v_mad_co_u64_u32 v[13:14], null, s12, v8, 0
	v_add_co_u32 v3, vcc_lo, v37, v3
	s_wait_alu 0xfffd
	v_add_co_ci_u32_e32 v4, vcc_lo, v38, v4, vcc_lo
	v_add_co_u32 v6, vcc_lo, v37, v1
	s_wait_alu 0xfffd
	v_add_co_ci_u32_e32 v7, vcc_lo, v38, v2, vcc_lo
	v_dual_mov_b32 v1, v12 :: v_dual_mov_b32 v2, v14
	v_mov_b32_e32 v10, v5
	s_delay_alu instid0(VALU_DEP_2) | instskip(SKIP_2) | instid1(VALU_DEP_4)
	v_mad_co_u64_u32 v[17:18], null, s13, v17, v[1:2]
	v_mad_co_u64_u32 v[18:19], null, s13, v8, v[2:3]
	;; [unrolled: 1-line block ×3, first 2 shown]
	v_lshlrev_b64_e32 v[9:10], 4, v[9:10]
	s_clause 0x1
	global_load_b128 v[1:4], v[3:4], off
	global_load_b128 v[5:8], v[6:7], off
	v_mov_b32_e32 v12, v17
	v_mad_co_u64_u32 v[16:17], null, s13, v21, v[16:17]
	v_dual_mov_b32 v14, v18 :: v_dual_mov_b32 v17, v20
	s_delay_alu instid0(VALU_DEP_3) | instskip(SKIP_1) | instid1(VALU_DEP_3)
	v_lshlrev_b64_e32 v[11:12], 4, v[11:12]
	v_add_co_u32 v9, vcc_lo, v37, v9
	v_lshlrev_b64_e32 v[13:14], 4, v[13:14]
	s_delay_alu instid0(VALU_DEP_4)
	v_mad_co_u64_u32 v[17:18], null, s13, v22, v[17:18]
	s_wait_alu 0xfffd
	v_add_co_ci_u32_e32 v10, vcc_lo, v38, v10, vcc_lo
	v_add_co_u32 v11, vcc_lo, v37, v11
	v_lshlrev_b64_e32 v[15:16], 4, v[15:16]
	s_wait_alu 0xfffd
	v_add_co_ci_u32_e32 v12, vcc_lo, v38, v12, vcc_lo
	v_mov_b32_e32 v20, v17
	v_add_co_u32 v13, vcc_lo, v37, v13
	s_wait_alu 0xfffd
	v_add_co_ci_u32_e32 v14, vcc_lo, v38, v14, vcc_lo
	s_delay_alu instid0(VALU_DEP_3) | instskip(SKIP_3) | instid1(VALU_DEP_3)
	v_lshlrev_b64_e32 v[17:18], 4, v[19:20]
	v_add_co_u32 v19, vcc_lo, v37, v15
	s_wait_alu 0xfffd
	v_add_co_ci_u32_e32 v20, vcc_lo, v38, v16, vcc_lo
	v_add_co_u32 v17, vcc_lo, v37, v17
	s_wait_alu 0xfffd
	v_add_co_ci_u32_e32 v18, vcc_lo, v38, v18, vcc_lo
	s_clause 0x4
	global_load_b128 v[21:24], v[9:10], off
	global_load_b128 v[9:12], v[11:12], off
	;; [unrolled: 1-line block ×5, first 2 shown]
.LBB0_12:
	s_load_b64 s[2:3], s[0:1], 0x0
	v_add_nc_u32_e32 v61, 28, v60
                                        ; kill: def $vgpr29_vgpr30 killed $sgpr0_sgpr1 killed $exec
                                        ; implicit-def: $vgpr43_vgpr44
                                        ; implicit-def: $vgpr39_vgpr40
                                        ; implicit-def: $vgpr51_vgpr52
                                        ; implicit-def: $vgpr55_vgpr56
                                        ; implicit-def: $vgpr47_vgpr48
                                        ; implicit-def: $vgpr35_vgpr36
                                        ; implicit-def: $vgpr31_vgpr32
	s_and_saveexec_b32 s14, s28
	s_cbranch_execz .LBB0_14
; %bb.13:
	v_add_nc_u32_e32 v35, 60, v60
	v_add_nc_u32_e32 v47, 0x7c, v60
	v_mad_co_u64_u32 v[29:30], null, s12, v61, 0
	v_add_nc_u32_e32 v52, 0xdc, v60
	s_delay_alu instid0(VALU_DEP_4) | instskip(NEXT) | instid1(VALU_DEP_4)
	v_mad_co_u64_u32 v[31:32], null, s12, v35, 0
	v_mad_co_u64_u32 v[41:42], null, s12, v47, 0
	v_add_nc_u32_e32 v36, 0x5c, v60
	v_add_nc_u32_e32 v51, 0xbc, v60
	s_delay_alu instid0(VALU_DEP_4) | instskip(NEXT) | instid1(VALU_DEP_3)
	v_mad_co_u64_u32 v[33:34], null, s13, v61, v[30:31]
	v_mad_co_u64_u32 v[39:40], null, s12, v36, 0
	v_mov_b32_e32 v30, v32
	s_delay_alu instid0(VALU_DEP_4) | instskip(NEXT) | instid1(VALU_DEP_2)
	v_mad_co_u64_u32 v[45:46], null, s12, v51, 0
	v_mad_co_u64_u32 v[34:35], null, s13, v35, v[30:31]
	s_delay_alu instid0(VALU_DEP_4) | instskip(SKIP_1) | instid1(VALU_DEP_2)
	v_mov_b32_e32 v32, v40
	v_mov_b32_e32 v30, v33
	v_mad_co_u64_u32 v[35:36], null, s13, v36, v[32:33]
	v_add_nc_u32_e32 v36, 0x9c, v60
	v_mov_b32_e32 v32, v34
	s_delay_alu instid0(VALU_DEP_4) | instskip(SKIP_1) | instid1(VALU_DEP_4)
	v_lshlrev_b64_e32 v[29:30], 4, v[29:30]
	v_mov_b32_e32 v33, v42
	v_mad_co_u64_u32 v[43:44], null, s12, v36, 0
	s_delay_alu instid0(VALU_DEP_4) | instskip(NEXT) | instid1(VALU_DEP_4)
	v_lshlrev_b64_e32 v[31:32], 4, v[31:32]
	v_add_co_u32 v29, vcc_lo, v37, v29
	s_wait_alu 0xfffd
	v_add_co_ci_u32_e32 v30, vcc_lo, v38, v30, vcc_lo
	v_mov_b32_e32 v40, v35
	s_delay_alu instid0(VALU_DEP_4) | instskip(SKIP_3) | instid1(VALU_DEP_3)
	v_add_co_u32 v34, vcc_lo, v37, v31
	v_mov_b32_e32 v31, v44
	s_wait_alu 0xfffd
	v_add_co_ci_u32_e32 v35, vcc_lo, v38, v32, vcc_lo
	v_mad_co_u64_u32 v[47:48], null, s13, v47, v[33:34]
	s_delay_alu instid0(VALU_DEP_3)
	v_mad_co_u64_u32 v[48:49], null, s13, v36, v[31:32]
	v_mad_co_u64_u32 v[49:50], null, s12, v52, 0
	v_lshlrev_b64_e32 v[39:40], 4, v[39:40]
	s_clause 0x1
	global_load_b128 v[29:32], v[29:30], off
	global_load_b128 v[33:36], v[34:35], off
	v_mov_b32_e32 v42, v47
	v_mad_co_u64_u32 v[46:47], null, s13, v51, v[46:47]
	v_dual_mov_b32 v44, v48 :: v_dual_mov_b32 v47, v50
	s_delay_alu instid0(VALU_DEP_3) | instskip(SKIP_1) | instid1(VALU_DEP_3)
	v_lshlrev_b64_e32 v[41:42], 4, v[41:42]
	v_add_co_u32 v39, vcc_lo, v37, v39
	v_lshlrev_b64_e32 v[43:44], 4, v[43:44]
	s_delay_alu instid0(VALU_DEP_4)
	v_mad_co_u64_u32 v[47:48], null, s13, v52, v[47:48]
	s_wait_alu 0xfffd
	v_add_co_ci_u32_e32 v40, vcc_lo, v38, v40, vcc_lo
	v_add_co_u32 v41, vcc_lo, v37, v41
	v_lshlrev_b64_e32 v[45:46], 4, v[45:46]
	s_wait_alu 0xfffd
	v_add_co_ci_u32_e32 v42, vcc_lo, v38, v42, vcc_lo
	v_mov_b32_e32 v50, v47
	v_add_co_u32 v43, vcc_lo, v37, v43
	s_wait_alu 0xfffd
	v_add_co_ci_u32_e32 v44, vcc_lo, v38, v44, vcc_lo
	s_delay_alu instid0(VALU_DEP_3) | instskip(SKIP_3) | instid1(VALU_DEP_3)
	v_lshlrev_b64_e32 v[47:48], 4, v[49:50]
	v_add_co_u32 v62, vcc_lo, v37, v45
	s_wait_alu 0xfffd
	v_add_co_ci_u32_e32 v63, vcc_lo, v38, v46, vcc_lo
	v_add_co_u32 v64, vcc_lo, v37, v47
	s_wait_alu 0xfffd
	v_add_co_ci_u32_e32 v65, vcc_lo, v38, v48, vcc_lo
	s_clause 0x4
	global_load_b128 v[45:48], v[39:40], off
	global_load_b128 v[53:56], v[41:42], off
	;; [unrolled: 1-line block ×5, first 2 shown]
.LBB0_14:
	s_wait_alu 0xfffe
	s_or_b32 exec_lo, exec_lo, s14
	s_wait_loadcnt 0x0
	v_add_f64_e32 v[62:63], v[5:6], v[17:18]
	v_add_f64_e32 v[64:65], v[7:8], v[19:20]
	;; [unrolled: 1-line block ×4, first 2 shown]
	v_add_f64_e64 v[21:22], v[21:22], -v[25:26]
	v_add_f64_e64 v[23:24], v[23:24], -v[27:28]
	v_add_f64_e32 v[25:26], v[13:14], v[9:10]
	v_add_f64_e32 v[27:28], v[15:16], v[11:12]
	v_add_f64_e64 v[9:10], v[13:14], -v[9:10]
	v_add_f64_e64 v[11:12], v[15:16], -v[11:12]
	;; [unrolled: 1-line block ×4, first 2 shown]
	s_mov_b32 s14, 0x36b3c0b5
	s_mov_b32 s28, 0xe976ee23
	;; [unrolled: 1-line block ×17, first 2 shown]
	s_wait_alu 0xfffe
	s_mov_b32 s34, s30
	s_mov_b32 s40, 0x37c3f68c
	s_mov_b32 s41, 0xbfdc38aa
	s_mov_b32 s42, exec_lo
	v_add_f64_e32 v[5:6], v[66:67], v[62:63]
	v_add_f64_e32 v[7:8], v[68:69], v[64:65]
	v_add_f64_e64 v[17:18], v[25:26], -v[66:67]
	v_add_f64_e64 v[19:20], v[27:28], -v[68:69]
	;; [unrolled: 1-line block ×6, first 2 shown]
	v_add_f64_e32 v[21:22], v[21:22], v[9:10]
	v_add_f64_e32 v[23:24], v[23:24], v[11:12]
	v_add_f64_e64 v[9:10], v[13:14], -v[9:10]
	v_add_f64_e64 v[11:12], v[15:16], -v[11:12]
	v_add_f64_e32 v[78:79], v[5:6], v[25:26]
	v_add_f64_e32 v[80:81], v[7:8], v[27:28]
	v_add_f64_e64 v[25:26], v[62:63], -v[25:26]
	v_add_f64_e64 v[27:28], v[64:65], -v[27:28]
	v_mul_f64_e32 v[17:18], s[14:15], v[17:18]
	v_mul_f64_e32 v[19:20], s[14:15], v[19:20]
	;; [unrolled: 1-line block ×4, first 2 shown]
	v_add_f64_e64 v[62:63], v[66:67], -v[62:63]
	v_add_f64_e64 v[64:65], v[68:69], -v[64:65]
	v_mul_f64_e32 v[66:67], s[12:13], v[74:75]
	v_mul_f64_e32 v[68:69], s[12:13], v[76:77]
	v_add_f64_e32 v[13:14], v[13:14], v[21:22]
	v_add_f64_e32 v[15:16], v[15:16], v[23:24]
	;; [unrolled: 1-line block ×4, first 2 shown]
	v_mul_f64_e32 v[1:2], s[24:25], v[25:26]
	v_mul_f64_e32 v[3:4], s[24:25], v[27:28]
	v_fma_f64 v[21:22], v[25:26], s[24:25], v[17:18]
	v_fma_f64 v[23:24], v[27:28], s[24:25], v[19:20]
	v_fma_f64 v[25:26], v[9:10], s[36:37], v[70:71]
	v_fma_f64 v[27:28], v[11:12], s[36:37], v[72:73]
	v_fma_f64 v[70:71], v[74:75], s[12:13], -v[70:71]
	v_fma_f64 v[72:73], v[76:77], s[12:13], -v[72:73]
	;; [unrolled: 1-line block ×6, first 2 shown]
	v_fma_f64 v[66:67], v[78:79], s[26:27], v[5:6]
	v_fma_f64 v[68:69], v[80:81], s[26:27], v[7:8]
	v_fma_f64 v[1:2], v[62:63], s[34:35], -v[1:2]
	v_fma_f64 v[3:4], v[64:65], s[34:35], -v[3:4]
	v_fma_f64 v[64:65], v[13:14], s[40:41], v[25:26]
	v_fma_f64 v[62:63], v[15:16], s[40:41], v[27:28]
	;; [unrolled: 1-line block ×6, first 2 shown]
	v_add_f64_e32 v[74:75], v[66:67], v[21:22]
	v_add_f64_e32 v[76:77], v[68:69], v[23:24]
	;; [unrolled: 1-line block ×7, first 2 shown]
	v_add_f64_e64 v[11:12], v[76:77], -v[64:65]
	v_add_f64_e32 v[13:14], v[72:73], v[1:2]
	v_add_f64_e64 v[15:16], v[3:4], -v[70:71]
	v_add_f64_e64 v[17:18], v[21:22], -v[27:28]
	v_add_f64_e32 v[19:20], v[23:24], v[25:26]
	v_add_f64_e32 v[21:22], v[27:28], v[21:22]
	v_add_f64_e64 v[23:24], v[23:24], -v[25:26]
	v_add_f64_e64 v[25:26], v[1:2], -v[72:73]
	v_add_f64_e32 v[27:28], v[3:4], v[70:71]
	v_add_f64_e64 v[62:63], v[74:75], -v[62:63]
	v_add_f64_e32 v[64:65], v[76:77], v[64:65]
	v_mad_u32_u24 v3, 0x3f0, v60, 0
	s_delay_alu instid0(VALU_DEP_1)
	v_lshl_add_u32 v1, v59, 4, v3
	ds_store_b128 v1, v[5:8]
	ds_store_b128 v1, v[9:12] offset:144
	ds_store_b128 v1, v[13:16] offset:288
	;; [unrolled: 1-line block ×6, first 2 shown]
	v_cmpx_gt_u32_e32 36, v0
	s_cbranch_execz .LBB0_16
; %bb.15:
	v_add_f64_e32 v[4:5], v[43:44], v[35:36]
	v_add_f64_e32 v[8:9], v[39:40], v[47:48]
	;; [unrolled: 1-line block ×4, first 2 shown]
	v_add_f64_e64 v[6:7], v[49:50], -v[53:54]
	v_add_f64_e64 v[14:15], v[45:46], -v[37:38]
	v_add_f64_e32 v[16:17], v[51:52], v[55:56]
	v_add_f64_e32 v[18:19], v[49:50], v[53:54]
	v_add_f64_e64 v[20:21], v[33:34], -v[41:42]
	v_add_f64_e64 v[24:25], v[51:52], -v[55:56]
	;; [unrolled: 1-line block ×4, first 2 shown]
	v_add_f64_e32 v[22:23], v[8:9], v[4:5]
	v_add_f64_e32 v[35:36], v[12:13], v[10:11]
	v_add_f64_e64 v[37:38], v[6:7], -v[14:15]
	v_add_f64_e64 v[39:40], v[4:5], -v[16:17]
	;; [unrolled: 1-line block ×7, first 2 shown]
	v_add_f64_e32 v[14:15], v[6:7], v[14:15]
	v_add_f64_e32 v[26:27], v[24:25], v[26:27]
	v_add_f64_e64 v[24:25], v[33:34], -v[24:25]
	v_add_f64_e64 v[10:11], v[12:13], -v[10:11]
	v_add_f64_e32 v[22:23], v[16:17], v[22:23]
	v_add_f64_e64 v[16:17], v[16:17], -v[8:9]
	v_add_f64_e32 v[35:36], v[18:19], v[35:36]
	v_add_f64_e64 v[18:19], v[18:19], -v[12:13]
	v_mul_f64_e32 v[37:38], s[28:29], v[37:38]
	v_mul_f64_e32 v[39:40], s[24:25], v[39:40]
	;; [unrolled: 1-line block ×4, first 2 shown]
	v_add_f64_e64 v[8:9], v[8:9], -v[4:5]
	v_mul_f64_e32 v[45:46], s[28:29], v[45:46]
	v_mul_f64_e32 v[53:54], s[12:13], v[47:48]
	v_add_f64_e32 v[14:15], v[14:15], v[20:21]
	v_add_f64_e32 v[20:21], v[26:27], v[33:34]
	;; [unrolled: 1-line block ×3, first 2 shown]
	v_mul_f64_e32 v[31:32], s[14:15], v[16:17]
	v_add_f64_e32 v[4:5], v[29:30], v[35:36]
	v_mul_f64_e32 v[12:13], s[14:15], v[18:19]
	v_fma_f64 v[26:27], v[49:50], s[36:37], v[37:38]
	v_fma_f64 v[16:17], v[16:17], s[14:15], v[39:40]
	;; [unrolled: 1-line block ×3, first 2 shown]
	v_fma_f64 v[28:29], v[49:50], s[38:39], -v[51:52]
	v_fma_f64 v[33:34], v[43:44], s[12:13], -v[37:38]
	;; [unrolled: 1-line block ×5, first 2 shown]
	v_fma_f64 v[22:23], v[22:23], s[26:27], v[6:7]
	v_fma_f64 v[8:9], v[8:9], s[30:31], -v[31:32]
	v_fma_f64 v[30:31], v[24:25], s[36:37], v[45:46]
	v_fma_f64 v[35:36], v[35:36], s[26:27], v[4:5]
	v_fma_f64 v[24:25], v[24:25], s[38:39], -v[53:54]
	v_fma_f64 v[10:11], v[10:11], s[30:31], -v[12:13]
	v_fma_f64 v[12:13], v[14:15], s[40:41], v[26:27]
	v_fma_f64 v[26:27], v[14:15], s[40:41], v[28:29]
	;; [unrolled: 1-line block ×4, first 2 shown]
	v_add_f64_e32 v[16:17], v[16:17], v[22:23]
	v_add_f64_e32 v[32:33], v[37:38], v[22:23]
	;; [unrolled: 1-line block ×3, first 2 shown]
	v_fma_f64 v[37:38], v[20:21], s[40:41], v[30:31]
	v_add_f64_e32 v[45:46], v[18:19], v[35:36]
	v_fma_f64 v[43:44], v[20:21], s[40:41], v[24:25]
	v_add_f64_e32 v[41:42], v[41:42], v[35:36]
	v_add_f64_e32 v[34:35], v[10:11], v[35:36]
	v_add_f64_e64 v[30:31], v[16:17], -v[12:13]
	v_add_f64_e32 v[14:15], v[26:27], v[32:33]
	v_add_f64_e64 v[18:19], v[8:9], -v[28:29]
	v_add_f64_e32 v[22:23], v[28:29], v[8:9]
	v_add_f64_e32 v[28:29], v[37:38], v[45:46]
	v_add_f64_e64 v[26:27], v[32:33], -v[26:27]
	v_add_f64_e32 v[24:25], v[43:44], v[41:42]
	v_add_f64_e64 v[20:21], v[34:35], -v[39:40]
	v_add_f64_e32 v[10:11], v[12:13], v[16:17]
	v_add_f64_e32 v[16:17], v[39:40], v[34:35]
	v_add_f64_e64 v[12:13], v[41:42], -v[43:44]
	v_add_f64_e64 v[8:9], v[45:46], -v[37:38]
	ds_store_b128 v1, v[4:7] offset:28224
	ds_store_b128 v1, v[28:31] offset:28368
	;; [unrolled: 1-line block ×7, first 2 shown]
.LBB0_16:
	s_or_b32 exec_lo, exec_lo, s42
	s_movk_i32 s12, 0x303c
	v_mul_lo_u16 v48, v60, 37
	s_wait_alu 0xfffe
	v_mad_u16 v0, 0x93, v60, s12
	s_movk_i32 s12, 0x93
	v_mul_lo_u16 v1, v61, 37
	s_wait_alu 0xfffe
	v_mad_u16 v2, v60, s12, 0x2028
	v_lshrrev_b16 v49, 8, v48
	v_lshrrev_b16 v50, 10, v0
	v_add_nc_u16 v5, v60, 56
	v_lshrrev_b16 v51, 8, v1
	v_lshrrev_b16 v52, 10, v2
	v_mul_lo_u16 v0, v49, 7
	v_mul_lo_u16 v2, v50, 7
	global_wb scope:SCOPE_SE
	s_wait_dscnt 0x0
	v_mul_lo_u16 v4, v51, 7
	v_mul_lo_u16 v6, v52, 7
	v_sub_nc_u16 v0, v60, v0
	v_sub_nc_u16 v2, v60, v2
	s_wait_kmcnt 0x0
	s_barrier_signal -1
	v_sub_nc_u16 v4, v61, v4
	v_sub_nc_u16 v5, v5, v6
	v_and_b32_e32 v53, 0xff, v0
	v_add_nc_u16 v0, v2, 0x54
	s_barrier_wait -1
	v_and_b32_e32 v54, 0xff, v4
	v_and_b32_e32 v55, 0xff, v5
	v_lshlrev_b32_e32 v2, 4, v53
	v_and_b32_e32 v56, 0xff, v0
	global_inv scope:SCOPE_SE
	v_lshlrev_b32_e32 v0, 4, v54
	v_lshlrev_b32_e32 v12, 4, v55
	global_load_b128 v[4:7], v2, s[2:3]
	v_lshlrev_b32_e32 v2, 4, v56
	v_lshrrev_b16 v68, 9, v48
	v_lshrrev_b16 v69, 9, v1
	s_clause 0x2
	global_load_b128 v[8:11], v0, s[2:3]
	global_load_b128 v[12:15], v12, s[2:3]
	;; [unrolled: 1-line block ×3, first 2 shown]
	v_mul_i32_i24_e32 v0, 0xfffffca0, v60
	v_lshlrev_b32_e32 v2, 4, v59
	v_cmp_gt_u64_e32 vcc_lo, s[22:23], v[57:58]
	s_delay_alu instid0(VALU_DEP_2)
	v_add3_u32 v0, v3, v0, v2
	ds_load_b128 v[20:23], v0 offset:16128
	ds_load_b128 v[24:27], v0 offset:20160
	;; [unrolled: 1-line block ×5, first 2 shown]
	s_or_b32 s12, s33, vcc_lo
	s_wait_loadcnt_dscnt 0x304
	v_mul_f64_e32 v[40:41], v[22:23], v[6:7]
	v_mul_f64_e32 v[6:7], v[20:21], v[6:7]
	s_wait_loadcnt_dscnt 0x203
	v_mul_f64_e32 v[42:43], v[26:27], v[10:11]
	v_mul_f64_e32 v[10:11], v[24:25], v[10:11]
	;; [unrolled: 3-line block ×4, first 2 shown]
	v_fma_f64 v[20:21], v[20:21], v[4:5], v[40:41]
	v_fma_f64 v[22:23], v[22:23], v[4:5], -v[6:7]
	v_fma_f64 v[24:25], v[24:25], v[8:9], v[42:43]
	v_fma_f64 v[26:27], v[26:27], v[8:9], -v[10:11]
	;; [unrolled: 2-line block ×4, first 2 shown]
	v_add_nc_u32_e32 v11, 0x2800, v0
	ds_load_b128 v[3:6], v0
	ds_load_b128 v[7:10], v0 offset:4032
	ds_load_2addr_b64 v[11:14], v11 offset0:232 offset1:233
	global_wb scope:SCOPE_SE
	s_wait_dscnt 0x0
	s_barrier_signal -1
	s_barrier_wait -1
	global_inv scope:SCOPE_SE
	v_add_f64_e64 v[15:16], v[3:4], -v[20:21]
	v_add_f64_e64 v[17:18], v[5:6], -v[22:23]
	;; [unrolled: 1-line block ×8, first 2 shown]
	v_mul_lo_u16 v35, v68, 14
	s_delay_alu instid0(VALU_DEP_1) | instskip(NEXT) | instid1(VALU_DEP_1)
	v_sub_nc_u16 v35, v60, v35
	v_and_b32_e32 v70, 0xff, v35
	v_and_b32_e32 v35, 0xffff, v50
	s_delay_alu instid0(VALU_DEP_1) | instskip(NEXT) | instid1(VALU_DEP_1)
	v_mad_u32_u24 v35, v35, 14, v56
	v_mul_u32_u24_e32 v35, 0x90, v35
	s_delay_alu instid0(VALU_DEP_1)
	v_add3_u32 v35, 0, v35, v2
	v_fma_f64 v[3:4], v[3:4], 2.0, -v[15:16]
	v_fma_f64 v[5:6], v[5:6], 2.0, -v[17:18]
	;; [unrolled: 1-line block ×8, first 2 shown]
	v_mul_lo_u16 v36, v69, 14
	v_and_b32_e32 v37, 0xffff, v49
	v_and_b32_e32 v38, 0xffff, v51
	;; [unrolled: 1-line block ×3, first 2 shown]
	s_delay_alu instid0(VALU_DEP_4) | instskip(NEXT) | instid1(VALU_DEP_2)
	v_sub_nc_u16 v36, v61, v36
	v_mad_u32_u24 v39, v39, 14, v55
	s_delay_alu instid0(VALU_DEP_2)
	v_and_b32_e32 v71, 0xff, v36
	v_mad_u32_u24 v36, v37, 14, v53
	v_mad_u32_u24 v37, v38, 14, v54
	v_mul_u32_u24_e32 v38, 3, v70
	v_mul_u32_u24_e32 v39, 0x90, v39
	;; [unrolled: 1-line block ×5, first 2 shown]
	v_lshlrev_b32_e32 v38, 4, v38
	v_add3_u32 v39, 0, v39, v2
	s_delay_alu instid0(VALU_DEP_4) | instskip(NEXT) | instid1(VALU_DEP_4)
	v_add3_u32 v36, 0, v36, v2
	v_add3_u32 v37, 0, v37, v2
	ds_store_b128 v36, v[3:6]
	ds_store_b128 v36, v[15:18] offset:1008
	ds_store_b128 v37, v[7:10]
	ds_store_b128 v37, v[19:22] offset:1008
	;; [unrolled: 2-line block ×4, first 2 shown]
	v_lshlrev_b32_e32 v23, 4, v40
	global_wb scope:SCOPE_SE
	s_wait_dscnt 0x0
	s_barrier_signal -1
	s_barrier_wait -1
	global_inv scope:SCOPE_SE
	s_clause 0x5
	global_load_b128 v[3:6], v38, s[2:3] offset:112
	global_load_b128 v[7:10], v38, s[2:3] offset:128
	global_load_b128 v[11:14], v38, s[2:3] offset:144
	global_load_b128 v[15:18], v23, s[2:3] offset:112
	global_load_b128 v[19:22], v23, s[2:3] offset:128
	global_load_b128 v[23:26], v23, s[2:3] offset:144
	ds_load_b128 v[27:30], v0 offset:8064
	ds_load_b128 v[31:34], v0 offset:16128
	;; [unrolled: 1-line block ×6, first 2 shown]
	s_wait_loadcnt_dscnt 0x404
	v_mul_f64_e32 v[53:54], v[33:34], v[9:10]
	v_mul_f64_e32 v[9:10], v[31:32], v[9:10]
	s_wait_loadcnt_dscnt 0x303
	v_mul_f64_e32 v[55:56], v[37:38], v[13:14]
	v_mul_f64_e32 v[51:52], v[29:30], v[5:6]
	;; [unrolled: 1-line block ×4, first 2 shown]
	s_wait_loadcnt_dscnt 0x202
	v_mul_f64_e32 v[62:63], v[41:42], v[17:18]
	v_mul_f64_e32 v[17:18], v[39:40], v[17:18]
	s_wait_loadcnt_dscnt 0x101
	v_mul_f64_e32 v[64:65], v[45:46], v[21:22]
	v_mul_f64_e32 v[21:22], v[43:44], v[21:22]
	;; [unrolled: 3-line block ×3, first 2 shown]
	v_fma_f64 v[31:32], v[31:32], v[7:8], v[53:54]
	v_fma_f64 v[33:34], v[33:34], v[7:8], -v[9:10]
	v_fma_f64 v[35:36], v[35:36], v[11:12], v[55:56]
	v_fma_f64 v[27:28], v[27:28], v[3:4], v[51:52]
	v_fma_f64 v[29:30], v[29:30], v[3:4], -v[5:6]
	v_fma_f64 v[11:12], v[37:38], v[11:12], -v[13:14]
	v_fma_f64 v[13:14], v[39:40], v[15:16], v[62:63]
	v_fma_f64 v[15:16], v[41:42], v[15:16], -v[17:18]
	v_fma_f64 v[17:18], v[43:44], v[19:20], v[64:65]
	;; [unrolled: 2-line block ×3, first 2 shown]
	v_fma_f64 v[23:24], v[49:50], v[23:24], -v[25:26]
	ds_load_b128 v[3:6], v0
	ds_load_b128 v[7:10], v0 offset:4032
	global_wb scope:SCOPE_SE
	s_wait_dscnt 0x0
	s_barrier_signal -1
	s_barrier_wait -1
	global_inv scope:SCOPE_SE
	v_add_f64_e64 v[25:26], v[3:4], -v[31:32]
	v_add_f64_e64 v[31:32], v[5:6], -v[33:34]
	;; [unrolled: 1-line block ×8, first 2 shown]
	v_fma_f64 v[39:40], v[3:4], 2.0, -v[25:26]
	v_fma_f64 v[41:42], v[5:6], 2.0, -v[31:32]
	;; [unrolled: 1-line block ×3, first 2 shown]
	v_add_f64_e64 v[5:6], v[31:32], -v[33:34]
	v_fma_f64 v[23:24], v[29:30], 2.0, -v[11:12]
	v_add_f64_e32 v[3:4], v[25:26], v[11:12]
	v_fma_f64 v[43:44], v[7:8], 2.0, -v[35:36]
	v_fma_f64 v[45:46], v[9:10], 2.0, -v[37:38]
	;; [unrolled: 1-line block ×4, first 2 shown]
	v_add_f64_e32 v[7:8], v[35:36], v[17:18]
	v_add_f64_e64 v[11:12], v[39:40], -v[21:22]
	v_fma_f64 v[21:22], v[31:32], 2.0, -v[5:6]
	v_add_f64_e64 v[13:14], v[41:42], -v[23:24]
	v_add_f64_e64 v[15:16], v[43:44], -v[9:10]
	;; [unrolled: 1-line block ×4, first 2 shown]
	v_fma_f64 v[19:20], v[25:26], 2.0, -v[3:4]
	v_fma_f64 v[23:24], v[35:36], 2.0, -v[7:8]
	v_and_b32_e32 v35, 0xffff, v68
	v_and_b32_e32 v36, 0xffff, v69
	s_delay_alu instid0(VALU_DEP_2) | instskip(NEXT) | instid1(VALU_DEP_2)
	v_mad_u32_u24 v35, v35, 56, v70
	v_mad_u32_u24 v36, v36, 56, v71
	s_delay_alu instid0(VALU_DEP_2) | instskip(NEXT) | instid1(VALU_DEP_2)
	v_mul_u32_u24_e32 v35, 0x90, v35
	v_mul_u32_u24_e32 v36, 0x90, v36
	s_delay_alu instid0(VALU_DEP_2) | instskip(NEXT) | instid1(VALU_DEP_2)
	v_add3_u32 v35, 0, v35, v2
	v_add3_u32 v2, 0, v36, v2
	v_fma_f64 v[27:28], v[39:40], 2.0, -v[11:12]
	v_fma_f64 v[29:30], v[41:42], 2.0, -v[13:14]
	;; [unrolled: 1-line block ×5, first 2 shown]
	ds_store_b128 v35, v[11:14] offset:4032
	ds_store_b128 v35, v[3:6] offset:6048
	ds_store_b128 v35, v[27:30]
	ds_store_b128 v35, v[19:22] offset:2016
	ds_store_b128 v2, v[31:34]
	ds_store_b128 v2, v[23:26] offset:2016
	ds_store_b128 v2, v[15:18] offset:4032
	;; [unrolled: 1-line block ×3, first 2 shown]
	global_wb scope:SCOPE_SE
	s_wait_dscnt 0x0
	s_barrier_signal -1
	s_barrier_wait -1
	global_inv scope:SCOPE_SE
	s_wait_alu 0xfffe
	s_and_saveexec_b32 s13, s12
	s_cbranch_execz .LBB0_18
; %bb.17:
	v_and_b32_e32 v2, 0xffff, v60
	s_load_b64 s[12:13], s[0:1], 0x8
	v_lshrrev_b16 v94, 11, v1
	v_add_nc_u32_e32 v66, 0x1f80, v0
	s_load_b64 s[0:1], s[0:1], 0x60
	v_mul_u32_u24_e32 v3, 3, v2
	v_mul_lo_u32 v58, v57, v2
	v_add_nc_u32_e32 v90, 0xa8, v2
	v_add_nc_u32_e32 v91, 0x70, v2
	;; [unrolled: 1-line block ×3, first 2 shown]
	v_lshlrev_b32_e32 v11, 4, v3
	v_mul_lo_u16 v1, v94, 56
	v_mul_lo_u32 v60, v57, v90
	v_mul_lo_u32 v80, v57, v91
	v_and_b32_e32 v15, 0xff, v58
	s_clause 0x2
	global_load_b128 v[3:6], v11, s[2:3] offset:800
	global_load_b128 v[7:10], v11, s[2:3] offset:784
	;; [unrolled: 1-line block ×3, first 2 shown]
	v_lshrrev_b32_e32 v16, 4, v58
	v_mul_lo_u32 v93, v57, v92
	v_sub_nc_u16 v1, v61, v1
	v_lshlrev_b32_e32 v15, 4, v15
	v_and_b32_e32 v23, 0xff, v60
	v_and_b32_e32 v19, 0xff0, v16
	v_lshrrev_b32_e32 v24, 4, v60
	s_wait_kmcnt 0x0
	s_clause 0x1
	global_load_b128 v[15:18], v15, s[12:13]
	global_load_b128 v[19:22], v19, s[12:13] offset:4096
	v_lshlrev_b32_e32 v23, 4, v23
	v_and_b32_e32 v27, 0xff0, v24
	s_clause 0x1
	global_load_b128 v[23:26], v23, s[12:13]
	global_load_b128 v[27:30], v27, s[12:13] offset:4096
	v_and_b32_e32 v31, 0xff, v80
	v_lshrrev_b32_e32 v32, 4, v80
	v_and_b32_e32 v39, 0xff, v93
	v_lshrrev_b32_e32 v40, 4, v93
	v_and_b32_e32 v1, 0xff, v1
	v_lshlrev_b32_e32 v31, 4, v31
	v_and_b32_e32 v35, 0xff0, v32
	s_clause 0x1
	global_load_b128 v[31:34], v31, s[12:13]
	global_load_b128 v[35:38], v35, s[12:13] offset:4096
	v_lshlrev_b32_e32 v39, 4, v39
	v_and_b32_e32 v43, 0xff0, v40
	s_clause 0x1
	global_load_b128 v[39:42], v39, s[12:13]
	global_load_b128 v[43:46], v43, s[12:13] offset:4096
	v_mul_u32_u24_e32 v47, 3, v1
	v_mul_lo_u32 v86, v57, v1
	s_mul_u64 s[8:9], s[8:9], s[16:17]
	s_mul_u64 s[14:15], s[6:7], s[20:21]
	s_delay_alu instid0(VALU_DEP_2)
	v_lshlrev_b32_e32 v74, 4, v47
	s_clause 0x1
	global_load_b128 v[47:50], v74, s[2:3] offset:800
	global_load_b128 v[51:54], v74, s[2:3] offset:784
	ds_load_b128 v[62:65], v0 offset:16128
	ds_load_b128 v[66:69], v66
	ds_load_b128 v[70:73], v0 offset:24192
	global_load_b128 v[74:77], v74, s[2:3] offset:816
	s_mul_u64 s[2:3], s[10:11], s[18:19]
	s_wait_alu 0xfffe
	s_lshl_b64 s[10:11], s[2:3], 4
	s_lshl_b64 s[2:3], s[8:9], 4
	s_wait_alu 0xfffe
	s_add_nc_u64 s[0:1], s[0:1], s[10:11]
	s_lshl_b64 s[8:9], s[14:15], 4
	s_add_nc_u64 s[0:1], s[0:1], s[2:3]
	s_wait_alu 0xfffe
	s_add_nc_u64 s[0:1], s[0:1], s[8:9]
	s_wait_loadcnt_dscnt 0xd02
	v_mul_f64_e32 v[55:56], v[62:63], v[5:6]
	v_mul_f64_e32 v[5:6], v[64:65], v[5:6]
	s_wait_loadcnt_dscnt 0xc01
	v_mul_f64_e32 v[78:79], v[68:69], v[9:10]
	v_mul_f64_e32 v[9:10], v[66:67], v[9:10]
	s_delay_alu instid0(VALU_DEP_4)
	v_fma_f64 v[55:56], v[64:65], v[3:4], -v[55:56]
	s_wait_loadcnt_dscnt 0xb00
	v_mul_f64_e32 v[64:65], v[72:73], v[13:14]
	v_mul_f64_e32 v[13:14], v[70:71], v[13:14]
	v_fma_f64 v[62:63], v[62:63], v[3:4], v[5:6]
	v_and_b32_e32 v3, 0xff, v86
	v_lshrrev_b32_e32 v4, 4, v86
	v_fma_f64 v[66:67], v[66:67], v[7:8], v[78:79]
	v_fma_f64 v[68:69], v[68:69], v[7:8], -v[9:10]
	s_wait_loadcnt 0x9
	v_mul_f64_e32 v[78:79], v[17:18], v[21:22]
	v_lshlrev_b32_e32 v3, 4, v3
	v_and_b32_e32 v81, 0xff0, v4
	s_clause 0x1
	global_load_b128 v[3:6], v3, s[12:13]
	global_load_b128 v[7:10], v81, s[12:13] offset:4096
	v_mul_f64_e32 v[21:22], v[15:16], v[21:22]
	v_fma_f64 v[64:65], v[70:71], v[11:12], v[64:65]
	v_fma_f64 v[70:71], v[72:73], v[11:12], -v[13:14]
	v_add_nc_u32_e32 v11, 0xa8, v1
	v_fma_f64 v[72:73], v[15:16], v[19:20], -v[78:79]
	s_delay_alu instid0(VALU_DEP_2) | instskip(SKIP_2) | instid1(VALU_DEP_3)
	v_mul_lo_u32 v95, v57, v11
	v_fma_f64 v[78:79], v[17:18], v[19:20], v[21:22]
	v_lshrrev_b32_e32 v19, 12, v80
	v_and_b32_e32 v11, 0xff, v95
	v_lshrrev_b32_e32 v12, 4, v95
	s_delay_alu instid0(VALU_DEP_3) | instskip(NEXT) | instid1(VALU_DEP_3)
	v_and_b32_e32 v19, 0xff0, v19
	v_lshlrev_b32_e32 v11, 4, v11
	s_delay_alu instid0(VALU_DEP_3)
	v_and_b32_e32 v81, 0xff0, v12
	s_clause 0x2
	global_load_b128 v[19:22], v19, s[12:13] offset:8192
	global_load_b128 v[11:14], v11, s[12:13]
	global_load_b128 v[15:18], v81, s[12:13] offset:4096
	s_wait_loadcnt 0xc
	v_mul_f64_e32 v[80:81], v[25:26], v[29:30]
	v_mul_f64_e32 v[29:30], v[23:24], v[29:30]
	v_add_f64_e64 v[70:71], v[68:69], -v[70:71]
	s_delay_alu instid0(VALU_DEP_3) | instskip(NEXT) | instid1(VALU_DEP_3)
	v_fma_f64 v[80:81], v[23:24], v[27:28], -v[80:81]
	v_fma_f64 v[82:83], v[25:26], v[27:28], v[29:30]
	s_wait_loadcnt 0xa
	v_mul_f64_e32 v[27:28], v[33:34], v[37:38]
	v_mul_f64_e32 v[29:30], v[31:32], v[37:38]
	v_lshrrev_b32_e32 v23, 12, v58
	s_delay_alu instid0(VALU_DEP_1)
	v_and_b32_e32 v23, 0xff0, v23
	global_load_b128 v[23:26], v23, s[12:13] offset:8192
	v_fma_f64 v[37:38], v[31:32], v[35:36], -v[27:28]
	v_fma_f64 v[35:36], v[33:34], v[35:36], v[29:30]
	s_wait_loadcnt 0x9
	v_mul_f64_e32 v[31:32], v[41:42], v[45:46]
	v_mul_f64_e32 v[33:34], v[39:40], v[45:46]
	ds_load_b128 v[27:30], v0 offset:20160
	s_wait_loadcnt_dscnt 0x800
	v_mul_f64_e32 v[45:46], v[29:30], v[49:50]
	v_fma_f64 v[39:40], v[39:40], v[43:44], -v[31:32]
	v_fma_f64 v[41:42], v[41:42], v[43:44], v[33:34]
	v_mul_f64_e32 v[43:44], v[27:28], v[49:50]
	ds_load_b128 v[31:34], v0 offset:12096
	v_fma_f64 v[45:46], v[27:28], v[47:48], v[45:46]
	v_fma_f64 v[43:44], v[29:30], v[47:48], -v[43:44]
	ds_load_b128 v[27:30], v0
	s_wait_loadcnt_dscnt 0x701
	v_mul_f64_e32 v[47:48], v[33:34], v[53:54]
	v_mul_f64_e32 v[49:50], v[31:32], v[53:54]
	s_delay_alu instid0(VALU_DEP_2) | instskip(NEXT) | instid1(VALU_DEP_2)
	v_fma_f64 v[47:48], v[31:32], v[51:52], v[47:48]
	v_fma_f64 v[49:50], v[33:34], v[51:52], -v[49:50]
	ds_load_b128 v[31:34], v0 offset:28224
	v_add_nc_u32_e32 v0, 0xfc0, v0
	s_wait_loadcnt_dscnt 0x600
	v_mul_f64_e32 v[51:52], v[33:34], v[76:77]
	v_mul_f64_e32 v[53:54], v[31:32], v[76:77]
	s_delay_alu instid0(VALU_DEP_2) | instskip(NEXT) | instid1(VALU_DEP_2)
	v_fma_f64 v[51:52], v[31:32], v[74:75], v[51:52]
	v_fma_f64 v[53:54], v[33:34], v[74:75], -v[53:54]
	v_add_nc_u32_e32 v31, 0x70, v1
	v_add_nc_u32_e32 v1, 56, v1
	s_delay_alu instid0(VALU_DEP_2) | instskip(NEXT) | instid1(VALU_DEP_2)
	v_mul_lo_u32 v58, v57, v31
	v_mul_lo_u32 v96, v57, v1
	s_wait_loadcnt 0x4
	v_mul_f64_e32 v[74:75], v[5:6], v[9:10]
	v_mul_f64_e32 v[9:10], v[3:4], v[9:10]
	s_delay_alu instid0(VALU_DEP_4) | instskip(NEXT) | instid1(VALU_DEP_4)
	v_lshrrev_b32_e32 v31, 12, v58
	v_and_b32_e32 v1, 0xff, v96
	s_delay_alu instid0(VALU_DEP_2) | instskip(NEXT) | instid1(VALU_DEP_2)
	v_and_b32_e32 v31, 0xff0, v31
	v_lshlrev_b32_e32 v1, 4, v1
	global_load_b128 v[31:34], v31, s[12:13] offset:8192
	v_add_f64_e64 v[51:52], v[47:48], -v[51:52]
	v_add_f64_e64 v[53:54], v[49:50], -v[53:54]
	v_fma_f64 v[74:75], v[3:4], v[7:8], -v[74:75]
	v_fma_f64 v[76:77], v[5:6], v[7:8], v[9:10]
	v_and_b32_e32 v7, 0xff, v58
	v_lshrrev_b32_e32 v8, 4, v58
	s_delay_alu instid0(VALU_DEP_2) | instskip(NEXT) | instid1(VALU_DEP_2)
	v_lshlrev_b32_e32 v7, 4, v7
	v_and_b32_e32 v8, 0xff0, v8
	s_wait_loadcnt 0x2
	v_mul_f64_e32 v[3:4], v[13:14], v[17:18]
	v_mul_f64_e32 v[5:6], v[11:12], v[17:18]
	v_fma_f64 v[47:48], v[47:48], 2.0, -v[51:52]
	v_fma_f64 v[49:50], v[49:50], 2.0, -v[53:54]
	s_delay_alu instid0(VALU_DEP_4) | instskip(NEXT) | instid1(VALU_DEP_4)
	v_fma_f64 v[17:18], v[11:12], v[15:16], -v[3:4]
	v_fma_f64 v[15:16], v[13:14], v[15:16], v[5:6]
	s_clause 0x1
	global_load_b128 v[3:6], v7, s[12:13]
	global_load_b128 v[7:10], v8, s[12:13] offset:4096
	v_lshrrev_b32_e32 v13, 4, v96
	s_delay_alu instid0(VALU_DEP_1) | instskip(SKIP_3) | instid1(VALU_DEP_2)
	v_and_b32_e32 v13, 0xff0, v13
	s_wait_loadcnt 0x0
	v_mul_f64_e32 v[11:12], v[5:6], v[9:10]
	v_mul_f64_e32 v[9:10], v[3:4], v[9:10]
	v_fma_f64 v[57:58], v[3:4], v[7:8], -v[11:12]
	s_delay_alu instid0(VALU_DEP_2) | instskip(SKIP_4) | instid1(VALU_DEP_1)
	v_fma_f64 v[84:85], v[5:6], v[7:8], v[9:10]
	s_clause 0x1
	global_load_b128 v[3:6], v1, s[12:13]
	global_load_b128 v[7:10], v13, s[12:13] offset:4096
	v_lshrrev_b32_e32 v1, 12, v86
	v_and_b32_e32 v1, 0xff0, v1
	global_load_b128 v[11:14], v1, s[12:13] offset:8192
	v_lshrrev_b32_e32 v1, 12, v60
	v_and_b32_e32 v60, 0xffff, v94
	s_delay_alu instid0(VALU_DEP_2) | instskip(SKIP_2) | instid1(VALU_DEP_1)
	v_and_b32_e32 v1, 0xff0, v1
	s_wait_loadcnt 0x1
	v_mul_f64_e32 v[86:87], v[5:6], v[9:10]
	v_fma_f64 v[86:87], v[3:4], v[7:8], -v[86:87]
	v_mul_f64_e32 v[3:4], v[3:4], v[9:10]
	s_delay_alu instid0(VALU_DEP_1) | instskip(SKIP_2) | instid1(VALU_DEP_2)
	v_fma_f64 v[88:89], v[5:6], v[7:8], v[3:4]
	v_mul_f64_e32 v[3:4], v[78:79], v[25:26]
	v_mul_f64_e32 v[5:6], v[72:73], v[25:26]
	v_fma_f64 v[25:26], v[23:24], v[72:73], -v[3:4]
	s_delay_alu instid0(VALU_DEP_2) | instskip(SKIP_2) | instid1(VALU_DEP_1)
	v_fma_f64 v[23:24], v[23:24], v[78:79], v[5:6]
	global_load_b128 v[3:6], v1, s[12:13] offset:8192
	v_lshrrev_b32_e32 v1, 12, v93
	v_and_b32_e32 v1, 0xff0, v1
	global_load_b128 v[7:10], v1, s[12:13] offset:8192
	v_lshrrev_b32_e32 v1, 12, v95
	s_delay_alu instid0(VALU_DEP_1) | instskip(SKIP_3) | instid1(VALU_DEP_2)
	v_and_b32_e32 v1, 0xff0, v1
	s_wait_loadcnt 0x1
	v_mul_f64_e32 v[72:73], v[82:83], v[5:6]
	v_mul_f64_e32 v[5:6], v[80:81], v[5:6]
	v_fma_f64 v[72:73], v[3:4], v[80:81], -v[72:73]
	s_delay_alu instid0(VALU_DEP_2) | instskip(SKIP_4) | instid1(VALU_DEP_1)
	v_fma_f64 v[78:79], v[3:4], v[82:83], v[5:6]
	global_load_b128 v[3:6], v1, s[12:13] offset:8192
	v_mul_f64_e32 v[80:81], v[35:36], v[21:22]
	v_mul_f64_e32 v[21:22], v[37:38], v[21:22]
	v_mad_u32_u24 v82, 0xa8, v60, v61
	v_add_nc_u32_e32 v93, 0xa8, v82
	s_delay_alu instid0(VALU_DEP_4) | instskip(NEXT) | instid1(VALU_DEP_4)
	v_fma_f64 v[80:81], v[19:20], v[37:38], -v[80:81]
	v_fma_f64 v[19:20], v[19:20], v[35:36], v[21:22]
	s_wait_loadcnt 0x1
	v_mul_f64_e32 v[21:22], v[41:42], v[9:10]
	v_mul_f64_e32 v[9:10], v[39:40], v[9:10]
	;; [unrolled: 1-line block ×4, first 2 shown]
	s_delay_alu instid0(VALU_DEP_4) | instskip(NEXT) | instid1(VALU_DEP_4)
	v_fma_f64 v[21:22], v[7:8], v[39:40], -v[21:22]
	v_fma_f64 v[9:10], v[7:8], v[41:42], v[9:10]
	v_mul_f64_e32 v[41:42], v[84:85], v[33:34]
	v_mul_f64_e32 v[33:34], v[57:58], v[33:34]
	v_fma_f64 v[35:36], v[11:12], v[74:75], -v[35:36]
	v_fma_f64 v[11:12], v[11:12], v[76:77], v[13:14]
	v_mad_co_u64_u32 v[13:14], null, s4, v2, 0
	v_fma_f64 v[41:42], v[31:32], v[57:58], -v[41:42]
	v_fma_f64 v[31:32], v[31:32], v[84:85], v[33:34]
	v_mad_co_u64_u32 v[57:58], null, s4, v82, 0
	v_add_nc_u32_e32 v85, 0x70, v82
	v_add_nc_u32_e32 v84, 56, v82
	s_delay_alu instid0(VALU_DEP_1)
	v_mad_co_u64_u32 v[76:77], null, s4, v84, 0
	s_wait_loadcnt 0x0
	v_mul_f64_e32 v[37:38], v[15:16], v[5:6]
	v_mul_f64_e32 v[39:40], v[17:18], v[5:6]
	ds_load_b128 v[5:8], v0
	v_mad_co_u64_u32 v[0:1], null, s6, v59, 0
	s_wait_dscnt 0x0
	v_add_f64_e64 v[43:44], v[7:8], -v[43:44]
	v_add_f64_e64 v[45:46], v[5:6], -v[45:46]
	v_fma_f64 v[17:18], v[3:4], v[17:18], -v[37:38]
	v_fma_f64 v[15:16], v[3:4], v[15:16], v[39:40]
	v_mad_co_u64_u32 v[3:4], null, s7, v59, v[1:2]
	v_mov_b32_e32 v1, v14
	v_mad_co_u64_u32 v[39:40], null, s4, v91, 0
	s_delay_alu instid0(VALU_DEP_2) | instskip(NEXT) | instid1(VALU_DEP_4)
	v_mad_co_u64_u32 v[33:34], null, s5, v2, v[1:2]
	v_mov_b32_e32 v1, v3
	v_mad_co_u64_u32 v[74:75], null, s4, v90, 0
	s_delay_alu instid0(VALU_DEP_4) | instskip(NEXT) | instid1(VALU_DEP_3)
	v_mov_b32_e32 v4, v40
	v_lshlrev_b64_e32 v[0:1], 4, v[0:1]
	v_mov_b32_e32 v14, v33
	v_add_f64_e64 v[33:34], v[29:30], -v[55:56]
	v_add_f64_e64 v[55:56], v[27:28], -v[62:63]
	v_mov_b32_e32 v3, v75
	v_mad_co_u64_u32 v[37:38], null, s4, v92, 0
	v_add_co_u32 v100, vcc_lo, s0, v0
	s_wait_alu 0xfffd
	v_add_co_ci_u32_e32 v101, vcc_lo, s1, v1, vcc_lo
	v_fma_f64 v[7:8], v[7:8], 2.0, -v[43:44]
	v_add_f64_e32 v[53:54], v[45:46], v[53:54]
	v_mov_b32_e32 v2, v38
	v_add_f64_e64 v[51:52], v[43:44], -v[51:52]
	s_delay_alu instid0(VALU_DEP_2)
	v_mad_co_u64_u32 v[59:60], null, s5, v92, v[2:3]
	v_mad_co_u64_u32 v[60:61], null, s5, v91, v[4:5]
	v_mad_co_u64_u32 v[61:62], null, s4, v85, 0
	v_mad_co_u64_u32 v[2:3], null, s5, v90, v[3:4]
	v_mov_b32_e32 v3, v58
	v_lshrrev_b32_e32 v58, 12, v96
	v_mov_b32_e32 v38, v59
	v_mov_b32_e32 v40, v60
	;; [unrolled: 1-line block ×3, first 2 shown]
	v_mad_co_u64_u32 v[3:4], null, s5, v82, v[3:4]
	v_mad_co_u64_u32 v[82:83], null, s4, v93, 0
	v_dual_mov_b32 v4, v77 :: v_dual_mov_b32 v75, v2
	s_delay_alu instid0(VALU_DEP_4) | instskip(SKIP_1) | instid1(VALU_DEP_3)
	v_mad_co_u64_u32 v[62:63], null, s5, v85, v[0:1]
	v_lshlrev_b64_e32 v[1:2], 4, v[13:14]
	v_mad_co_u64_u32 v[59:60], null, s5, v84, v[4:5]
	v_mov_b32_e32 v0, v83
	v_and_b32_e32 v60, 0xff0, v58
	v_mov_b32_e32 v58, v3
	v_add_co_u32 v84, vcc_lo, v100, v1
	s_delay_alu instid0(VALU_DEP_4)
	v_mad_co_u64_u32 v[13:14], null, s5, v93, v[0:1]
	v_mov_b32_e32 v77, v59
	s_wait_alu 0xfffd
	v_add_co_ci_u32_e32 v85, vcc_lo, v101, v2, vcc_lo
	global_load_b128 v[0:3], v60, s[12:13] offset:8192
	v_add_f64_e64 v[63:64], v[66:67], -v[64:65]
	v_fma_f64 v[29:30], v[29:30], 2.0, -v[33:34]
	v_fma_f64 v[27:28], v[27:28], 2.0, -v[55:56]
	;; [unrolled: 1-line block ×3, first 2 shown]
	v_add_f64_e64 v[49:50], v[7:8], -v[49:50]
	v_fma_f64 v[45:46], v[45:46], 2.0, -v[53:54]
	v_fma_f64 v[43:44], v[43:44], 2.0, -v[51:52]
	v_mov_b32_e32 v83, v13
	v_mul_f64_e32 v[13:14], v[51:52], v[15:16]
	v_lshlrev_b64_e32 v[37:38], 4, v[37:38]
	v_lshlrev_b64_e32 v[39:40], 4, v[39:40]
	v_lshlrev_b64_e32 v[57:58], 4, v[57:58]
	v_fma_f64 v[65:66], v[66:67], 2.0, -v[63:64]
	v_fma_f64 v[67:68], v[68:69], 2.0, -v[70:71]
	v_add_f64_e32 v[69:70], v[55:56], v[70:71]
	v_add_f64_e64 v[63:64], v[33:34], -v[63:64]
	v_add_f64_e64 v[47:48], v[4:5], -v[47:48]
	v_fma_f64 v[92:93], v[7:8], 2.0, -v[49:50]
	v_mul_f64_e32 v[98:99], v[49:50], v[31:32]
	v_add_f64_e64 v[65:66], v[27:28], -v[65:66]
	v_add_f64_e64 v[67:68], v[29:30], -v[67:68]
	v_fma_f64 v[55:56], v[55:56], 2.0, -v[69:70]
	v_fma_f64 v[33:34], v[33:34], 2.0, -v[63:64]
	;; [unrolled: 1-line block ×3, first 2 shown]
	v_mul_f64_e32 v[4:5], v[53:54], v[15:16]
	v_fma_f64 v[27:28], v[27:28], 2.0, -v[65:66]
	v_fma_f64 v[29:30], v[29:30], 2.0, -v[67:68]
	v_mul_f64_e32 v[15:16], v[65:66], v[19:20]
	v_mul_f64_e32 v[19:20], v[67:68], v[19:20]
	;; [unrolled: 1-line block ×4, first 2 shown]
	v_fma_f64 v[6:7], v[51:52], v[17:18], -v[4:5]
	v_fma_f64 v[4:5], v[53:54], v[17:18], v[13:14]
	v_fma_f64 v[8:9], v[65:66], v[80:81], v[19:20]
	s_wait_loadcnt 0x0
	v_mul_f64_e32 v[59:60], v[86:87], v[2:3]
	v_mul_f64_e32 v[2:3], v[88:89], v[2:3]
	s_delay_alu instid0(VALU_DEP_2) | instskip(SKIP_2) | instid1(VALU_DEP_4)
	v_fma_f64 v[59:60], v[0:1], v[88:89], v[59:60]
	v_mul_f64_e32 v[88:89], v[69:70], v[78:79]
	v_mul_f64_e32 v[78:79], v[63:64], v[78:79]
	v_fma_f64 v[86:87], v[0:1], v[86:87], -v[2:3]
	s_delay_alu instid0(VALU_DEP_3)
	v_fma_f64 v[2:3], v[63:64], v[72:73], -v[88:89]
	v_mul_f64_e32 v[63:64], v[27:28], v[23:24]
	v_mul_f64_e32 v[23:24], v[29:30], v[23:24]
	v_fma_f64 v[0:1], v[69:70], v[72:73], v[78:79]
	v_mul_f64_e32 v[78:79], v[90:91], v[11:12]
	v_mul_f64_e32 v[88:89], v[92:93], v[11:12]
	;; [unrolled: 1-line block ×5, first 2 shown]
	v_fma_f64 v[10:11], v[67:68], v[80:81], -v[15:16]
	v_fma_f64 v[14:15], v[33:34], v[21:22], -v[94:95]
	v_fma_f64 v[12:13], v[55:56], v[21:22], v[96:97]
	v_fma_f64 v[20:21], v[47:48], v[41:42], v[98:99]
	v_lshlrev_b64_e32 v[73:74], 4, v[74:75]
	v_add_co_u32 v32, vcc_lo, v100, v37
	s_wait_alu 0xfffd
	v_add_co_ci_u32_e32 v33, vcc_lo, v101, v38, vcc_lo
	v_add_co_u32 v34, vcc_lo, v100, v39
	v_lshlrev_b64_e32 v[38:39], 4, v[76:77]
	v_fma_f64 v[18:19], v[29:30], v[25:26], -v[63:64]
	v_fma_f64 v[16:17], v[27:28], v[25:26], v[23:24]
	v_fma_f64 v[30:31], v[92:93], v[35:36], -v[78:79]
	v_fma_f64 v[28:29], v[90:91], v[35:36], v[88:89]
	;; [unrolled: 2-line block ×3, first 2 shown]
	v_fma_f64 v[22:23], v[49:50], v[41:42], -v[69:70]
	s_wait_alu 0xfffd
	v_add_co_ci_u32_e32 v35, vcc_lo, v101, v40, vcc_lo
	v_add_co_u32 v36, vcc_lo, v100, v73
	s_wait_alu 0xfffd
	v_add_co_ci_u32_e32 v37, vcc_lo, v101, v74, vcc_lo
	v_lshlrev_b64_e32 v[40:41], 4, v[61:62]
	v_add_co_u32 v44, vcc_lo, v100, v57
	s_wait_alu 0xfffd
	v_add_co_ci_u32_e32 v45, vcc_lo, v101, v58, vcc_lo
	v_lshlrev_b64_e32 v[42:43], 4, v[82:83]
	v_add_co_u32 v38, vcc_lo, v100, v38
	s_wait_alu 0xfffd
	v_add_co_ci_u32_e32 v39, vcc_lo, v101, v39, vcc_lo
	v_add_co_u32 v40, vcc_lo, v100, v40
	s_wait_alu 0xfffd
	v_add_co_ci_u32_e32 v41, vcc_lo, v101, v41, vcc_lo
	;; [unrolled: 3-line block ×3, first 2 shown]
	s_clause 0x7
	global_store_b128 v[84:85], v[16:19], off
	global_store_b128 v[32:33], v[12:15], off
	;; [unrolled: 1-line block ×8, first 2 shown]
.LBB0_18:
	s_nop 0
	s_sendmsg sendmsg(MSG_DEALLOC_VGPRS)
	s_endpgm
	.section	.rodata,"a",@progbits
	.p2align	6, 0x0
	.amdhsa_kernel fft_rtc_back_len224_factors_7_2_4_4_wgs_252_tpt_28_dim3_dp_op_CI_CI_sbcc_twdbase8_3step_dirReg
		.amdhsa_group_segment_fixed_size 0
		.amdhsa_private_segment_fixed_size 0
		.amdhsa_kernarg_size 104
		.amdhsa_user_sgpr_count 2
		.amdhsa_user_sgpr_dispatch_ptr 0
		.amdhsa_user_sgpr_queue_ptr 0
		.amdhsa_user_sgpr_kernarg_segment_ptr 1
		.amdhsa_user_sgpr_dispatch_id 0
		.amdhsa_user_sgpr_private_segment_size 0
		.amdhsa_wavefront_size32 1
		.amdhsa_uses_dynamic_stack 0
		.amdhsa_enable_private_segment 0
		.amdhsa_system_sgpr_workgroup_id_x 1
		.amdhsa_system_sgpr_workgroup_id_y 0
		.amdhsa_system_sgpr_workgroup_id_z 0
		.amdhsa_system_sgpr_workgroup_info 0
		.amdhsa_system_vgpr_workitem_id 0
		.amdhsa_next_free_vgpr 102
		.amdhsa_next_free_sgpr 43
		.amdhsa_reserve_vcc 1
		.amdhsa_float_round_mode_32 0
		.amdhsa_float_round_mode_16_64 0
		.amdhsa_float_denorm_mode_32 3
		.amdhsa_float_denorm_mode_16_64 3
		.amdhsa_fp16_overflow 0
		.amdhsa_workgroup_processor_mode 1
		.amdhsa_memory_ordered 1
		.amdhsa_forward_progress 0
		.amdhsa_round_robin_scheduling 0
		.amdhsa_exception_fp_ieee_invalid_op 0
		.amdhsa_exception_fp_denorm_src 0
		.amdhsa_exception_fp_ieee_div_zero 0
		.amdhsa_exception_fp_ieee_overflow 0
		.amdhsa_exception_fp_ieee_underflow 0
		.amdhsa_exception_fp_ieee_inexact 0
		.amdhsa_exception_int_div_zero 0
	.end_amdhsa_kernel
	.text
.Lfunc_end0:
	.size	fft_rtc_back_len224_factors_7_2_4_4_wgs_252_tpt_28_dim3_dp_op_CI_CI_sbcc_twdbase8_3step_dirReg, .Lfunc_end0-fft_rtc_back_len224_factors_7_2_4_4_wgs_252_tpt_28_dim3_dp_op_CI_CI_sbcc_twdbase8_3step_dirReg
                                        ; -- End function
	.section	.AMDGPU.csdata,"",@progbits
; Kernel info:
; codeLenInByte = 8488
; NumSgprs: 45
; NumVgprs: 102
; ScratchSize: 0
; MemoryBound: 1
; FloatMode: 240
; IeeeMode: 1
; LDSByteSize: 0 bytes/workgroup (compile time only)
; SGPRBlocks: 5
; VGPRBlocks: 12
; NumSGPRsForWavesPerEU: 45
; NumVGPRsForWavesPerEU: 102
; Occupancy: 12
; WaveLimiterHint : 1
; COMPUTE_PGM_RSRC2:SCRATCH_EN: 0
; COMPUTE_PGM_RSRC2:USER_SGPR: 2
; COMPUTE_PGM_RSRC2:TRAP_HANDLER: 0
; COMPUTE_PGM_RSRC2:TGID_X_EN: 1
; COMPUTE_PGM_RSRC2:TGID_Y_EN: 0
; COMPUTE_PGM_RSRC2:TGID_Z_EN: 0
; COMPUTE_PGM_RSRC2:TIDIG_COMP_CNT: 0
	.text
	.p2alignl 7, 3214868480
	.fill 96, 4, 3214868480
	.type	__hip_cuid_926fdaeb04e00884,@object ; @__hip_cuid_926fdaeb04e00884
	.section	.bss,"aw",@nobits
	.globl	__hip_cuid_926fdaeb04e00884
__hip_cuid_926fdaeb04e00884:
	.byte	0                               ; 0x0
	.size	__hip_cuid_926fdaeb04e00884, 1

	.ident	"AMD clang version 19.0.0git (https://github.com/RadeonOpenCompute/llvm-project roc-6.4.0 25133 c7fe45cf4b819c5991fe208aaa96edf142730f1d)"
	.section	".note.GNU-stack","",@progbits
	.addrsig
	.addrsig_sym __hip_cuid_926fdaeb04e00884
	.amdgpu_metadata
---
amdhsa.kernels:
  - .args:
      - .actual_access:  read_only
        .address_space:  global
        .offset:         0
        .size:           8
        .value_kind:     global_buffer
      - .address_space:  global
        .offset:         8
        .size:           8
        .value_kind:     global_buffer
      - .actual_access:  read_only
        .address_space:  global
        .offset:         16
        .size:           8
        .value_kind:     global_buffer
      - .actual_access:  read_only
        .address_space:  global
        .offset:         24
        .size:           8
        .value_kind:     global_buffer
      - .actual_access:  read_only
        .address_space:  global
        .offset:         32
        .size:           8
        .value_kind:     global_buffer
      - .offset:         40
        .size:           8
        .value_kind:     by_value
      - .actual_access:  read_only
        .address_space:  global
        .offset:         48
        .size:           8
        .value_kind:     global_buffer
      - .actual_access:  read_only
        .address_space:  global
        .offset:         56
        .size:           8
        .value_kind:     global_buffer
      - .offset:         64
        .size:           4
        .value_kind:     by_value
      - .actual_access:  read_only
        .address_space:  global
        .offset:         72
        .size:           8
        .value_kind:     global_buffer
      - .actual_access:  read_only
        .address_space:  global
        .offset:         80
        .size:           8
        .value_kind:     global_buffer
      - .actual_access:  read_only
        .address_space:  global
        .offset:         88
        .size:           8
        .value_kind:     global_buffer
      - .actual_access:  write_only
        .address_space:  global
        .offset:         96
        .size:           8
        .value_kind:     global_buffer
    .group_segment_fixed_size: 0
    .kernarg_segment_align: 8
    .kernarg_segment_size: 104
    .language:       OpenCL C
    .language_version:
      - 2
      - 0
    .max_flat_workgroup_size: 252
    .name:           fft_rtc_back_len224_factors_7_2_4_4_wgs_252_tpt_28_dim3_dp_op_CI_CI_sbcc_twdbase8_3step_dirReg
    .private_segment_fixed_size: 0
    .sgpr_count:     45
    .sgpr_spill_count: 0
    .symbol:         fft_rtc_back_len224_factors_7_2_4_4_wgs_252_tpt_28_dim3_dp_op_CI_CI_sbcc_twdbase8_3step_dirReg.kd
    .uniform_work_group_size: 1
    .uses_dynamic_stack: false
    .vgpr_count:     102
    .vgpr_spill_count: 0
    .wavefront_size: 32
    .workgroup_processor_mode: 1
amdhsa.target:   amdgcn-amd-amdhsa--gfx1201
amdhsa.version:
  - 1
  - 2
...

	.end_amdgpu_metadata
